;; amdgpu-corpus repo=ROCm/rocFFT kind=compiled arch=gfx1030 opt=O3
	.text
	.amdgcn_target "amdgcn-amd-amdhsa--gfx1030"
	.amdhsa_code_object_version 6
	.protected	fft_rtc_back_len864_factors_3_6_16_3_wgs_54_tpt_54_halfLds_sp_op_CI_CI_sbrr_dirReg ; -- Begin function fft_rtc_back_len864_factors_3_6_16_3_wgs_54_tpt_54_halfLds_sp_op_CI_CI_sbrr_dirReg
	.globl	fft_rtc_back_len864_factors_3_6_16_3_wgs_54_tpt_54_halfLds_sp_op_CI_CI_sbrr_dirReg
	.p2align	8
	.type	fft_rtc_back_len864_factors_3_6_16_3_wgs_54_tpt_54_halfLds_sp_op_CI_CI_sbrr_dirReg,@function
fft_rtc_back_len864_factors_3_6_16_3_wgs_54_tpt_54_halfLds_sp_op_CI_CI_sbrr_dirReg: ; @fft_rtc_back_len864_factors_3_6_16_3_wgs_54_tpt_54_halfLds_sp_op_CI_CI_sbrr_dirReg
; %bb.0:
	s_clause 0x2
	s_load_dwordx4 s[16:19], s[4:5], 0x18
	s_load_dwordx4 s[8:11], s[4:5], 0x0
	;; [unrolled: 1-line block ×3, first 2 shown]
	v_mul_u32_u24_e32 v2, 0x4be, v0
	v_mov_b32_e32 v1, 0
	v_mov_b32_e32 v8, 0
	;; [unrolled: 1-line block ×3, first 2 shown]
	s_waitcnt lgkmcnt(0)
	s_load_dwordx2 s[20:21], s[16:17], 0x0
	s_load_dwordx2 s[2:3], s[18:19], 0x0
	v_cmp_lt_u64_e64 s0, s[10:11], 2
	v_add_nc_u32_sdwa v3, s6, v2 dst_sel:DWORD dst_unused:UNUSED_PAD src0_sel:DWORD src1_sel:WORD_1
	v_mov_b32_e32 v4, v1
	s_and_b32 vcc_lo, exec_lo, s0
	s_cbranch_vccnz .LBB0_8
; %bb.1:
	s_load_dwordx2 s[0:1], s[4:5], 0x10
	v_mov_b32_e32 v8, 0
	v_mov_b32_e32 v9, 0
	s_add_u32 s6, s18, 8
	s_addc_u32 s7, s19, 0
	s_add_u32 s22, s16, 8
	s_addc_u32 s23, s17, 0
	v_mov_b32_e32 v21, v9
	v_mov_b32_e32 v20, v8
	s_mov_b64 s[26:27], 1
	s_waitcnt lgkmcnt(0)
	s_add_u32 s24, s0, 8
	s_addc_u32 s25, s1, 0
.LBB0_2:                                ; =>This Inner Loop Header: Depth=1
	s_load_dwordx2 s[28:29], s[24:25], 0x0
                                        ; implicit-def: $vgpr22_vgpr23
	s_mov_b32 s0, exec_lo
	s_waitcnt lgkmcnt(0)
	v_or_b32_e32 v2, s29, v4
	v_cmpx_ne_u64_e32 0, v[1:2]
	s_xor_b32 s1, exec_lo, s0
	s_cbranch_execz .LBB0_4
; %bb.3:                                ;   in Loop: Header=BB0_2 Depth=1
	v_cvt_f32_u32_e32 v2, s28
	v_cvt_f32_u32_e32 v5, s29
	s_sub_u32 s0, 0, s28
	s_subb_u32 s30, 0, s29
	v_fmac_f32_e32 v2, 0x4f800000, v5
	v_rcp_f32_e32 v2, v2
	v_mul_f32_e32 v2, 0x5f7ffffc, v2
	v_mul_f32_e32 v5, 0x2f800000, v2
	v_trunc_f32_e32 v5, v5
	v_fmac_f32_e32 v2, 0xcf800000, v5
	v_cvt_u32_f32_e32 v5, v5
	v_cvt_u32_f32_e32 v2, v2
	v_mul_lo_u32 v6, s0, v5
	v_mul_hi_u32 v7, s0, v2
	v_mul_lo_u32 v10, s30, v2
	v_add_nc_u32_e32 v6, v7, v6
	v_mul_lo_u32 v7, s0, v2
	v_add_nc_u32_e32 v6, v6, v10
	v_mul_hi_u32 v10, v2, v7
	v_mul_lo_u32 v11, v2, v6
	v_mul_hi_u32 v12, v2, v6
	v_mul_hi_u32 v13, v5, v7
	v_mul_lo_u32 v7, v5, v7
	v_mul_hi_u32 v14, v5, v6
	v_mul_lo_u32 v6, v5, v6
	v_add_co_u32 v10, vcc_lo, v10, v11
	v_add_co_ci_u32_e32 v11, vcc_lo, 0, v12, vcc_lo
	v_add_co_u32 v7, vcc_lo, v10, v7
	v_add_co_ci_u32_e32 v7, vcc_lo, v11, v13, vcc_lo
	v_add_co_ci_u32_e32 v10, vcc_lo, 0, v14, vcc_lo
	v_add_co_u32 v6, vcc_lo, v7, v6
	v_add_co_ci_u32_e32 v7, vcc_lo, 0, v10, vcc_lo
	v_add_co_u32 v2, vcc_lo, v2, v6
	v_add_co_ci_u32_e32 v5, vcc_lo, v5, v7, vcc_lo
	v_mul_hi_u32 v6, s0, v2
	v_mul_lo_u32 v10, s30, v2
	v_mul_lo_u32 v7, s0, v5
	v_add_nc_u32_e32 v6, v6, v7
	v_mul_lo_u32 v7, s0, v2
	v_add_nc_u32_e32 v6, v6, v10
	v_mul_hi_u32 v10, v2, v7
	v_mul_lo_u32 v11, v2, v6
	v_mul_hi_u32 v12, v2, v6
	v_mul_hi_u32 v13, v5, v7
	v_mul_lo_u32 v7, v5, v7
	v_mul_hi_u32 v14, v5, v6
	v_mul_lo_u32 v6, v5, v6
	v_add_co_u32 v10, vcc_lo, v10, v11
	v_add_co_ci_u32_e32 v11, vcc_lo, 0, v12, vcc_lo
	v_add_co_u32 v7, vcc_lo, v10, v7
	v_add_co_ci_u32_e32 v7, vcc_lo, v11, v13, vcc_lo
	v_add_co_ci_u32_e32 v10, vcc_lo, 0, v14, vcc_lo
	v_add_co_u32 v6, vcc_lo, v7, v6
	v_add_co_ci_u32_e32 v7, vcc_lo, 0, v10, vcc_lo
	v_add_co_u32 v2, vcc_lo, v2, v6
	v_add_co_ci_u32_e32 v7, vcc_lo, v5, v7, vcc_lo
	v_mul_hi_u32 v14, v3, v2
	v_mad_u64_u32 v[10:11], null, v4, v2, 0
	v_mad_u64_u32 v[5:6], null, v3, v7, 0
	v_mad_u64_u32 v[12:13], null, v4, v7, 0
	v_add_co_u32 v2, vcc_lo, v14, v5
	v_add_co_ci_u32_e32 v5, vcc_lo, 0, v6, vcc_lo
	v_add_co_u32 v2, vcc_lo, v2, v10
	v_add_co_ci_u32_e32 v2, vcc_lo, v5, v11, vcc_lo
	v_add_co_ci_u32_e32 v5, vcc_lo, 0, v13, vcc_lo
	v_add_co_u32 v2, vcc_lo, v2, v12
	v_add_co_ci_u32_e32 v7, vcc_lo, 0, v5, vcc_lo
	v_mul_lo_u32 v10, s29, v2
	v_mad_u64_u32 v[5:6], null, s28, v2, 0
	v_mul_lo_u32 v11, s28, v7
	v_sub_co_u32 v5, vcc_lo, v3, v5
	v_add3_u32 v6, v6, v11, v10
	v_sub_nc_u32_e32 v10, v4, v6
	v_subrev_co_ci_u32_e64 v10, s0, s29, v10, vcc_lo
	v_add_co_u32 v11, s0, v2, 2
	v_add_co_ci_u32_e64 v12, s0, 0, v7, s0
	v_sub_co_u32 v13, s0, v5, s28
	v_sub_co_ci_u32_e32 v6, vcc_lo, v4, v6, vcc_lo
	v_subrev_co_ci_u32_e64 v10, s0, 0, v10, s0
	v_cmp_le_u32_e32 vcc_lo, s28, v13
	v_cmp_eq_u32_e64 s0, s29, v6
	v_cndmask_b32_e64 v13, 0, -1, vcc_lo
	v_cmp_le_u32_e32 vcc_lo, s29, v10
	v_cndmask_b32_e64 v14, 0, -1, vcc_lo
	v_cmp_le_u32_e32 vcc_lo, s28, v5
	;; [unrolled: 2-line block ×3, first 2 shown]
	v_cndmask_b32_e64 v15, 0, -1, vcc_lo
	v_cmp_eq_u32_e32 vcc_lo, s29, v10
	v_cndmask_b32_e64 v5, v15, v5, s0
	v_cndmask_b32_e32 v10, v14, v13, vcc_lo
	v_add_co_u32 v13, vcc_lo, v2, 1
	v_add_co_ci_u32_e32 v14, vcc_lo, 0, v7, vcc_lo
	v_cmp_ne_u32_e32 vcc_lo, 0, v10
	v_cndmask_b32_e32 v6, v14, v12, vcc_lo
	v_cndmask_b32_e32 v10, v13, v11, vcc_lo
	v_cmp_ne_u32_e32 vcc_lo, 0, v5
	v_cndmask_b32_e32 v23, v7, v6, vcc_lo
	v_cndmask_b32_e32 v22, v2, v10, vcc_lo
.LBB0_4:                                ;   in Loop: Header=BB0_2 Depth=1
	s_andn2_saveexec_b32 s0, s1
	s_cbranch_execz .LBB0_6
; %bb.5:                                ;   in Loop: Header=BB0_2 Depth=1
	v_cvt_f32_u32_e32 v2, s28
	s_sub_i32 s1, 0, s28
	v_mov_b32_e32 v23, v1
	v_rcp_iflag_f32_e32 v2, v2
	v_mul_f32_e32 v2, 0x4f7ffffe, v2
	v_cvt_u32_f32_e32 v2, v2
	v_mul_lo_u32 v5, s1, v2
	v_mul_hi_u32 v5, v2, v5
	v_add_nc_u32_e32 v2, v2, v5
	v_mul_hi_u32 v2, v3, v2
	v_mul_lo_u32 v5, v2, s28
	v_add_nc_u32_e32 v6, 1, v2
	v_sub_nc_u32_e32 v5, v3, v5
	v_subrev_nc_u32_e32 v7, s28, v5
	v_cmp_le_u32_e32 vcc_lo, s28, v5
	v_cndmask_b32_e32 v5, v5, v7, vcc_lo
	v_cndmask_b32_e32 v2, v2, v6, vcc_lo
	v_cmp_le_u32_e32 vcc_lo, s28, v5
	v_add_nc_u32_e32 v6, 1, v2
	v_cndmask_b32_e32 v22, v2, v6, vcc_lo
.LBB0_6:                                ;   in Loop: Header=BB0_2 Depth=1
	s_or_b32 exec_lo, exec_lo, s0
	v_mul_lo_u32 v2, v23, s28
	v_mul_lo_u32 v7, v22, s29
	s_load_dwordx2 s[0:1], s[22:23], 0x0
	v_mad_u64_u32 v[5:6], null, v22, s28, 0
	s_load_dwordx2 s[28:29], s[6:7], 0x0
	s_add_u32 s26, s26, 1
	s_addc_u32 s27, s27, 0
	s_add_u32 s6, s6, 8
	s_addc_u32 s7, s7, 0
	s_add_u32 s22, s22, 8
	v_add3_u32 v2, v6, v7, v2
	v_sub_co_u32 v3, vcc_lo, v3, v5
	s_addc_u32 s23, s23, 0
	s_add_u32 s24, s24, 8
	v_sub_co_ci_u32_e32 v2, vcc_lo, v4, v2, vcc_lo
	s_addc_u32 s25, s25, 0
	s_waitcnt lgkmcnt(0)
	v_mul_lo_u32 v4, s0, v2
	v_mul_lo_u32 v5, s1, v3
	v_mad_u64_u32 v[8:9], null, s0, v3, v[8:9]
	v_mul_lo_u32 v2, s28, v2
	v_mul_lo_u32 v6, s29, v3
	v_mad_u64_u32 v[20:21], null, s28, v3, v[20:21]
	v_cmp_ge_u64_e64 s0, s[26:27], s[10:11]
	v_add3_u32 v9, v5, v9, v4
	v_add3_u32 v21, v6, v21, v2
	s_and_b32 vcc_lo, exec_lo, s0
	s_cbranch_vccnz .LBB0_9
; %bb.7:                                ;   in Loop: Header=BB0_2 Depth=1
	v_mov_b32_e32 v3, v22
	v_mov_b32_e32 v4, v23
	s_branch .LBB0_2
.LBB0_8:
	v_mov_b32_e32 v21, v9
	v_mov_b32_e32 v23, v4
	;; [unrolled: 1-line block ×4, first 2 shown]
.LBB0_9:
	s_load_dwordx2 s[4:5], s[4:5], 0x28
	v_mul_hi_u32 v2, 0x4bda130, v0
	s_lshl_b64 s[6:7], s[10:11], 3
                                        ; implicit-def: $vgpr53
                                        ; implicit-def: $vgpr54
                                        ; implicit-def: $vgpr55
                                        ; implicit-def: $vgpr56
                                        ; implicit-def: $vgpr57
	s_waitcnt lgkmcnt(0)
	v_cmp_gt_u64_e64 s0, s[4:5], v[22:23]
	v_cmp_le_u64_e32 vcc_lo, s[4:5], v[22:23]
	s_add_u32 s4, s18, s6
	s_addc_u32 s5, s19, s7
	s_and_saveexec_b32 s1, vcc_lo
	s_xor_b32 s1, exec_lo, s1
; %bb.10:
	v_mul_u32_u24_e32 v1, 54, v2
                                        ; implicit-def: $vgpr2
                                        ; implicit-def: $vgpr8_vgpr9
	v_sub_nc_u32_e32 v53, v0, v1
                                        ; implicit-def: $vgpr0
	v_add_nc_u32_e32 v54, 54, v53
	v_add_nc_u32_e32 v55, 0x6c, v53
	;; [unrolled: 1-line block ×4, first 2 shown]
; %bb.11:
	s_or_saveexec_b32 s1, s1
	s_load_dwordx2 s[4:5], s[4:5], 0x0
                                        ; implicit-def: $vgpr5
                                        ; implicit-def: $vgpr19
                                        ; implicit-def: $vgpr17
                                        ; implicit-def: $vgpr7
                                        ; implicit-def: $vgpr35
                                        ; implicit-def: $vgpr33
                                        ; implicit-def: $vgpr15
                                        ; implicit-def: $vgpr25
                                        ; implicit-def: $vgpr46
                                        ; implicit-def: $vgpr38
                                        ; implicit-def: $vgpr48
                                        ; implicit-def: $vgpr44
                                        ; implicit-def: $vgpr1
                                        ; implicit-def: $vgpr42
                                        ; implicit-def: $vgpr40
                                        ; implicit-def: $vgpr52
                                        ; implicit-def: $vgpr50
                                        ; implicit-def: $vgpr3
	s_xor_b32 exec_lo, exec_lo, s1
	s_cbranch_execz .LBB0_15
; %bb.12:
	s_add_u32 s6, s16, s6
	s_addc_u32 s7, s17, s7
	v_mul_u32_u24_e32 v1, 54, v2
	s_load_dwordx2 s[6:7], s[6:7], 0x0
                                        ; implicit-def: $vgpr49
                                        ; implicit-def: $vgpr51
	v_sub_nc_u32_e32 v53, v0, v1
	v_lshlrev_b64 v[0:1], 3, v[8:9]
	v_add_nc_u32_e32 v15, 0x120, v53
	v_mad_u64_u32 v[2:3], null, s20, v53, 0
	v_or_b32_e32 v17, 0x240, v53
	v_add_nc_u32_e32 v54, 54, v53
	v_mad_u64_u32 v[4:5], null, s20, v15, 0
	v_add_nc_u32_e32 v19, 0x156, v53
	v_mad_u64_u32 v[6:7], null, s20, v17, 0
	v_mad_u64_u32 v[10:11], null, s20, v54, 0
	s_waitcnt lgkmcnt(0)
	v_mul_lo_u32 v16, s7, v22
	v_mul_lo_u32 v18, s6, v23
	v_mad_u64_u32 v[8:9], null, s6, v22, 0
	v_mad_u64_u32 v[12:13], null, s21, v53, v[3:4]
	v_mov_b32_e32 v3, v5
	v_mov_b32_e32 v5, v7
	;; [unrolled: 1-line block ×3, first 2 shown]
	v_mad_u64_u32 v[13:14], null, s20, v19, 0
	v_add3_u32 v9, v9, v18, v16
	v_mad_u64_u32 v[15:16], null, s21, v15, v[3:4]
	v_mov_b32_e32 v3, v12
	v_mad_u64_u32 v[11:12], null, s21, v17, v[5:6]
	v_lshlrev_b64 v[8:9], 3, v[8:9]
	v_add_nc_u32_e32 v55, 0x6c, v53
	v_add_nc_u32_e32 v26, 0x18c, v53
	v_mov_b32_e32 v5, v15
	v_add_nc_u32_e32 v15, 0x276, v53
	v_add_nc_u32_e32 v56, 0xa2, v53
	v_mad_u64_u32 v[16:17], null, s21, v54, v[7:8]
	v_lshlrev_b64 v[17:18], 3, v[2:3]
	v_add_co_u32 v2, vcc_lo, s12, v8
	v_add_co_ci_u32_e32 v7, vcc_lo, s13, v9, vcc_lo
	v_mad_u64_u32 v[24:25], null, s20, v15, 0
	v_add_co_u32 v3, vcc_lo, v2, v0
	v_add_co_ci_u32_e32 v8, vcc_lo, v7, v1, vcc_lo
	v_mov_b32_e32 v7, v11
	v_mov_b32_e32 v11, v16
	;; [unrolled: 1-line block ×3, first 2 shown]
	v_lshlrev_b64 v[0:1], 3, v[4:5]
	v_add_co_u32 v4, vcc_lo, v3, v17
	v_lshlrev_b64 v[6:7], 3, v[6:7]
	v_lshlrev_b64 v[9:10], 3, v[10:11]
	v_mad_u64_u32 v[11:12], null, s21, v19, v[2:3]
	v_add_co_ci_u32_e32 v5, vcc_lo, v8, v18, vcc_lo
	v_add_co_u32 v0, vcc_lo, v3, v0
	v_add_co_ci_u32_e32 v1, vcc_lo, v8, v1, vcc_lo
	v_add_co_u32 v6, vcc_lo, v3, v6
	v_mov_b32_e32 v2, v25
	v_add_co_ci_u32_e32 v7, vcc_lo, v8, v7, vcc_lo
	v_mov_b32_e32 v14, v11
	v_mad_u64_u32 v[11:12], null, s20, v55, 0
	v_add_co_u32 v9, vcc_lo, v3, v9
	v_add_co_ci_u32_e32 v10, vcc_lo, v8, v10, vcc_lo
	v_mad_u64_u32 v[15:16], null, s21, v15, v[2:3]
	s_clause 0x3
	global_load_dwordx2 v[4:5], v[4:5], off
	global_load_dwordx2 v[18:19], v[0:1], off
	;; [unrolled: 1-line block ×4, first 2 shown]
	v_mad_u64_u32 v[9:10], null, s20, v26, 0
	v_mov_b32_e32 v2, v12
	v_lshlrev_b64 v[0:1], 3, v[13:14]
	v_mad_u64_u32 v[28:29], null, s20, v56, 0
	v_mov_b32_e32 v25, v15
	v_mad_u64_u32 v[12:13], null, s21, v55, v[2:3]
	v_mov_b32_e32 v2, v10
	v_add_nc_u32_e32 v15, 0x2ac, v53
	v_lshlrev_b64 v[13:14], 3, v[24:25]
	v_add_nc_u32_e32 v36, 0x1c2, v53
	v_add_co_u32 v0, vcc_lo, v3, v0
	v_mad_u64_u32 v[24:25], null, s21, v26, v[2:3]
	v_mad_u64_u32 v[26:27], null, s20, v15, 0
	v_lshlrev_b64 v[11:12], 3, v[11:12]
	v_add_co_ci_u32_e32 v1, vcc_lo, v8, v1, vcc_lo
	v_add_co_u32 v13, vcc_lo, v3, v13
	v_mov_b32_e32 v10, v24
	v_mov_b32_e32 v2, v27
	v_add_co_ci_u32_e32 v14, vcc_lo, v8, v14, vcc_lo
	v_add_co_u32 v11, vcc_lo, v3, v11
	v_mad_u64_u32 v[24:25], null, s21, v15, v[2:3]
	v_mov_b32_e32 v2, v29
	v_lshlrev_b64 v[9:10], 3, v[9:10]
	v_add_co_ci_u32_e32 v12, vcc_lo, v8, v12, vcc_lo
	v_add_nc_u32_e32 v37, 0x2e2, v53
	v_mad_u64_u32 v[29:30], null, s21, v56, v[2:3]
	v_mad_u64_u32 v[30:31], null, s20, v36, 0
	v_add_co_u32 v9, vcc_lo, v3, v9
	v_add_co_ci_u32_e32 v10, vcc_lo, v8, v10, vcc_lo
	v_mov_b32_e32 v27, v24
	s_clause 0x3
	global_load_dwordx2 v[34:35], v[0:1], off
	global_load_dwordx2 v[32:33], v[13:14], off
	;; [unrolled: 1-line block ×4, first 2 shown]
	v_mov_b32_e32 v2, v31
	v_add_nc_u32_e32 v57, 0xd8, v53
	v_mad_u64_u32 v[9:10], null, s20, v37, 0
	v_add_nc_u32_e32 v39, 0x1f8, v53
	v_mad_u64_u32 v[11:12], null, s21, v36, v[2:3]
	v_mad_u64_u32 v[12:13], null, s20, v57, 0
	v_lshlrev_b64 v[0:1], 3, v[26:27]
	v_mov_b32_e32 v2, v10
	v_lshlrev_b64 v[26:27], 3, v[28:29]
	v_mad_u64_u32 v[28:29], null, s20, v39, 0
	v_mov_b32_e32 v31, v11
	v_mad_u64_u32 v[10:11], null, s21, v37, v[2:3]
	v_mov_b32_e32 v2, v13
	v_add_nc_u32_e32 v11, 0x318, v53
	v_add_co_u32 v0, vcc_lo, v3, v0
	v_add_co_ci_u32_e32 v1, vcc_lo, v8, v1, vcc_lo
	v_mad_u64_u32 v[36:37], null, s21, v57, v[2:3]
	v_mad_u64_u32 v[37:38], null, s20, v11, 0
	v_mov_b32_e32 v2, v29
	v_lshlrev_b64 v[29:30], 3, v[30:31]
	v_add_co_u32 v26, vcc_lo, v3, v26
	v_add_co_ci_u32_e32 v27, vcc_lo, v8, v27, vcc_lo
	v_mad_u64_u32 v[39:40], null, s21, v39, v[2:3]
	v_mov_b32_e32 v2, v38
	v_add_co_u32 v40, vcc_lo, v3, v29
	v_add_co_ci_u32_e32 v41, vcc_lo, v8, v30, vcc_lo
	v_mad_u64_u32 v[30:31], null, s21, v11, v[2:3]
	v_mov_b32_e32 v13, v36
	v_lshlrev_b64 v[9:10], 3, v[9:10]
	v_mov_b32_e32 v29, v39
	s_mov_b32 s6, exec_lo
                                        ; implicit-def: $vgpr2
	v_lshlrev_b64 v[11:12], 3, v[12:13]
	v_mov_b32_e32 v38, v30
	v_add_co_u32 v9, vcc_lo, v3, v9
	v_lshlrev_b64 v[28:29], 3, v[28:29]
	v_add_co_ci_u32_e32 v10, vcc_lo, v8, v10, vcc_lo
	v_add_co_u32 v11, vcc_lo, v3, v11
	v_lshlrev_b64 v[30:31], 3, v[37:38]
	v_add_co_ci_u32_e32 v12, vcc_lo, v8, v12, vcc_lo
	v_add_co_u32 v28, vcc_lo, v3, v28
	v_add_co_ci_u32_e32 v29, vcc_lo, v8, v29, vcc_lo
	v_add_co_u32 v30, vcc_lo, v3, v30
	v_add_co_ci_u32_e32 v31, vcc_lo, v8, v31, vcc_lo
	s_clause 0x6
	global_load_dwordx2 v[45:46], v[0:1], off
	global_load_dwordx2 v[37:38], v[26:27], off
	;; [unrolled: 1-line block ×7, first 2 shown]
	v_cmpx_gt_u32_e32 18, v53
	s_cbranch_execz .LBB0_14
; %bb.13:
	v_add_nc_u32_e32 v13, 0x10e, v53
	v_add_nc_u32_e32 v29, 0x22e, v53
	v_add_nc_u32_e32 v30, 0x34e, v53
	v_mad_u64_u32 v[9:10], null, s20, v13, 0
	v_mad_u64_u32 v[11:12], null, s20, v29, 0
	v_mad_u64_u32 v[26:27], null, s20, v30, 0
	v_mov_b32_e32 v2, v10
	v_mov_b32_e32 v10, v12
	;; [unrolled: 1-line block ×3, first 2 shown]
	v_mad_u64_u32 v[27:28], null, s21, v13, v[2:3]
	v_mad_u64_u32 v[28:29], null, s21, v29, v[10:11]
	;; [unrolled: 1-line block ×3, first 2 shown]
	v_mov_b32_e32 v10, v27
	v_mov_b32_e32 v12, v28
	;; [unrolled: 1-line block ×3, first 2 shown]
	v_lshlrev_b64 v[9:10], 3, v[9:10]
	v_lshlrev_b64 v[11:12], 3, v[11:12]
	;; [unrolled: 1-line block ×3, first 2 shown]
	v_add_co_u32 v9, vcc_lo, v3, v9
	v_add_co_ci_u32_e32 v10, vcc_lo, v8, v10, vcc_lo
	v_add_co_u32 v11, vcc_lo, v3, v11
	v_add_co_ci_u32_e32 v12, vcc_lo, v8, v12, vcc_lo
	;; [unrolled: 2-line block ×3, first 2 shown]
	s_clause 0x2
	global_load_dwordx2 v[2:3], v[9:10], off
	global_load_dwordx2 v[49:50], v[11:12], off
	;; [unrolled: 1-line block ×3, first 2 shown]
.LBB0_14:
	s_or_b32 exec_lo, exec_lo, s6
.LBB0_15:
	s_or_b32 exec_lo, exec_lo, s1
	s_waitcnt vmcnt(12)
	v_add_f32_e32 v8, v18, v16
	s_waitcnt vmcnt(9)
	v_add_f32_e32 v11, v34, v32
	v_add_f32_e32 v9, v4, v18
	v_sub_f32_e32 v10, v19, v17
	v_sub_f32_e32 v12, v35, v33
	v_fmac_f32_e32 v4, -0.5, v8
	v_add_f32_e32 v8, v6, v34
	v_fmac_f32_e32 v6, -0.5, v11
	s_waitcnt vmcnt(7)
	v_add_f32_e32 v13, v14, v24
	v_add_f32_e32 v9, v9, v16
	v_fmamk_f32 v11, v10, 0xbf5db3d7, v4
	v_fmac_f32_e32 v4, 0x3f5db3d7, v10
	s_waitcnt vmcnt(6)
	v_add_f32_e32 v10, v24, v45
	v_fmamk_f32 v26, v12, 0xbf5db3d7, v6
	v_fmac_f32_e32 v6, 0x3f5db3d7, v12
	s_waitcnt vmcnt(3)
	v_add_f32_e32 v12, v47, v43
	v_add_f32_e32 v27, v13, v45
	v_fmac_f32_e32 v14, -0.5, v10
	v_sub_f32_e32 v10, v25, v46
	v_add_f32_e32 v13, v37, v47
	v_fmac_f32_e32 v37, -0.5, v12
	v_sub_f32_e32 v12, v48, v44
	s_waitcnt vmcnt(0)
	v_sub_f32_e32 v31, v42, v40
	v_fmamk_f32 v28, v10, 0xbf5db3d7, v14
	v_fmac_f32_e32 v14, 0x3f5db3d7, v10
	v_add_f32_e32 v29, v13, v43
	v_add_f32_e32 v10, v41, v39
	v_fmamk_f32 v30, v12, 0xbf5db3d7, v37
	v_add_f32_e32 v13, v0, v41
	v_fmac_f32_e32 v37, 0x3f5db3d7, v12
	v_add_f32_e32 v12, v51, v49
	v_fmac_f32_e32 v0, -0.5, v10
	v_sub_f32_e32 v36, v50, v52
	v_add_f32_e32 v58, v13, v39
	v_add_f32_e32 v13, v49, v2
	v_fmac_f32_e32 v2, -0.5, v12
	v_mad_u32_u24 v64, v53, 12, 0
	v_add_f32_e32 v8, v8, v32
	v_mad_i32_i24 v63, v54, 12, 0
	v_fmamk_f32 v10, v31, 0xbf5db3d7, v0
	v_fmac_f32_e32 v0, 0x3f5db3d7, v31
	v_add_f32_e32 v12, v51, v13
	v_fmamk_f32 v13, v36, 0xbf5db3d7, v2
	v_fmac_f32_e32 v2, 0x3f5db3d7, v36
	ds_write2_b32 v64, v9, v11 offset1:1
	v_mad_i32_i24 v62, v55, 12, 0
	ds_write_b32 v64, v4 offset:8
	ds_write2_b32 v63, v8, v26 offset1:1
	ds_write_b32 v63, v6 offset:8
	v_mad_i32_i24 v4, v56, 12, 0
	v_cmp_gt_u32_e32 vcc_lo, 18, v53
	v_mad_i32_i24 v6, v57, 12, 0
	ds_write2_b32 v62, v27, v28 offset1:1
	ds_write_b32 v62, v14 offset:8
	ds_write2_b32 v4, v29, v30 offset1:1
	ds_write_b32 v4, v37 offset:8
	;; [unrolled: 2-line block ×3, first 2 shown]
	s_and_saveexec_b32 s1, vcc_lo
	s_cbranch_execz .LBB0_17
; %bb.16:
	v_add_nc_u32_e32 v4, 0xca8, v64
	ds_write2_b32 v4, v12, v13 offset1:1
	ds_write_b32 v64, v2 offset:3248
.LBB0_17:
	s_or_b32 exec_lo, exec_lo, s1
	v_lshlrev_b32_e32 v4, 3, v53
	v_lshlrev_b32_e32 v6, 3, v54
	s_waitcnt lgkmcnt(0)
	s_barrier
	buffer_gl0_inv
	v_sub_nc_u32_e32 v60, v64, v4
	v_sub_nc_u32_e32 v4, v63, v6
	v_cmp_gt_u32_e64 s1, 36, v53
	v_lshlrev_b32_e32 v65, 3, v55
	v_add_nc_u32_e32 v11, 0x200, v60
	v_add_nc_u32_e32 v14, 0x400, v60
	;; [unrolled: 1-line block ×4, first 2 shown]
	ds_read2_b32 v[8:9], v60 offset1:144
	ds_read2_b32 v[36:37], v11 offset0:70 offset1:160
	ds_read2_b32 v[30:31], v14 offset0:86 offset1:176
	;; [unrolled: 1-line block ×4, first 2 shown]
	ds_read_b32 v59, v4
	ds_read_b32 v61, v60 offset:3096
	v_mul_i32_i24_e32 v14, 12, v56
	v_mul_i32_i24_e32 v4, 12, v57
	s_and_saveexec_b32 s6, s1
	s_cbranch_execz .LBB0_19
; %bb.18:
	v_add_nc_u32_e32 v0, 0x300, v60
	v_sub_nc_u32_e32 v2, v62, v65
	ds_read2_b32 v[10:11], v0 offset0:60 offset1:204
	ds_read2_b32 v[12:13], v66 offset0:28 offset1:172
	ds_read_b32 v58, v2
	ds_read_b32 v2, v60 offset:3312
	s_waitcnt lgkmcnt(3)
	v_mov_b32_e32 v0, v11
.LBB0_19:
	s_or_b32 exec_lo, exec_lo, s6
	v_add_f32_e32 v66, v19, v17
	v_sub_nc_u32_e32 v11, 0, v6
	v_add_f32_e32 v6, v5, v19
	v_sub_f32_e32 v16, v18, v16
	v_add_f32_e32 v18, v35, v33
	v_fmac_f32_e32 v5, -0.5, v66
	v_add_f32_e32 v19, v7, v35
	v_add_f32_e32 v35, v6, v17
	;; [unrolled: 1-line block ×3, first 2 shown]
	v_fmac_f32_e32 v7, -0.5, v18
	v_fmamk_f32 v18, v16, 0x3f5db3d7, v5
	v_fmac_f32_e32 v5, 0xbf5db3d7, v16
	v_add_f32_e32 v16, v15, v25
	v_sub_f32_e32 v32, v34, v32
	v_add_f32_e32 v17, v48, v44
	v_fmac_f32_e32 v15, -0.5, v6
	v_sub_f32_e32 v6, v24, v45
	v_add_f32_e32 v24, v16, v46
	v_add_f32_e32 v16, v38, v48
	;; [unrolled: 1-line block ×3, first 2 shown]
	v_fmamk_f32 v33, v32, 0x3f5db3d7, v7
	v_fmac_f32_e32 v7, 0xbf5db3d7, v32
	v_fmac_f32_e32 v38, -0.5, v17
	v_sub_f32_e32 v17, v47, v43
	v_fmamk_f32 v25, v6, 0x3f5db3d7, v15
	v_fmac_f32_e32 v15, 0xbf5db3d7, v6
	v_add_f32_e32 v32, v16, v44
	v_add_f32_e32 v6, v42, v40
	v_add_f32_e32 v16, v52, v50
	v_fmamk_f32 v43, v17, 0x3f5db3d7, v38
	v_fmac_f32_e32 v38, 0xbf5db3d7, v17
	v_add_f32_e32 v17, v1, v42
	v_fmac_f32_e32 v1, -0.5, v6
	v_sub_f32_e32 v39, v41, v39
	v_add_f32_e32 v41, v50, v3
	v_fmac_f32_e32 v3, -0.5, v16
	v_sub_f32_e32 v42, v49, v51
	v_add_f32_e32 v34, v17, v40
	v_fmamk_f32 v6, v39, 0x3f5db3d7, v1
	v_fmac_f32_e32 v1, 0xbf5db3d7, v39
	v_add_f32_e32 v16, v52, v41
	v_fmamk_f32 v17, v42, 0x3f5db3d7, v3
	v_fmac_f32_e32 v3, 0xbf5db3d7, v42
	v_add_nc_u32_e32 v50, 0x10e, v53
	s_waitcnt lgkmcnt(0)
	s_barrier
	buffer_gl0_inv
	ds_write2_b32 v64, v35, v18 offset1:1
	ds_write_b32 v64, v5 offset:8
	ds_write2_b32 v63, v19, v33 offset1:1
	v_add_nc_u32_e32 v5, 0, v14
	v_add_nc_u32_e32 v4, 0, v4
	ds_write_b32 v63, v7 offset:8
	ds_write2_b32 v62, v24, v25 offset1:1
	ds_write_b32 v62, v15 offset:8
	ds_write2_b32 v5, v32, v43 offset1:1
	;; [unrolled: 2-line block ×3, first 2 shown]
	ds_write_b32 v4, v1 offset:8
	s_and_saveexec_b32 s6, vcc_lo
	s_cbranch_execz .LBB0_21
; %bb.20:
	v_mad_u32_u24 v4, v50, 12, 0
	ds_write2_b32 v4, v16, v17 offset1:1
	ds_write_b32 v4, v3 offset:8
.LBB0_21:
	s_or_b32 exec_lo, exec_lo, s6
	v_add_nc_u32_e32 v7, 0x200, v60
	v_add_nc_u32_e32 v14, 0x400, v60
	;; [unrolled: 1-line block ×5, first 2 shown]
	s_waitcnt lgkmcnt(0)
	s_barrier
	buffer_gl0_inv
	ds_read2_b32 v[4:5], v60 offset1:144
	ds_read2_b32 v[32:33], v7 offset0:70 offset1:160
	ds_read2_b32 v[24:25], v14 offset0:86 offset1:176
	;; [unrolled: 1-line block ×4, first 2 shown]
	ds_read_b32 v38, v48
	ds_read_b32 v11, v60 offset:3096
	s_and_saveexec_b32 s6, s1
	s_cbranch_execz .LBB0_23
; %bb.22:
	v_add_nc_u32_e32 v1, 0x300, v60
	v_sub_nc_u32_e32 v3, v62, v65
	ds_read2_b32 v[6:7], v1 offset0:60 offset1:204
	ds_read2_b32 v[16:17], v35 offset0:28 offset1:172
	ds_read_b32 v34, v3
	ds_read_b32 v3, v60 offset:3312
	s_waitcnt lgkmcnt(3)
	v_mov_b32_e32 v1, v7
.LBB0_23:
	s_or_b32 exec_lo, exec_lo, s6
	v_and_b32_e32 v35, 0xff, v53
	v_and_b32_e32 v7, 0xff, v54
	v_mov_b32_e32 v42, 5
	v_mov_b32_e32 v47, 2
	v_mul_lo_u16 v39, 0xab, v35
	v_mul_lo_u16 v7, 0xab, v7
	v_lshrrev_b16 v41, 9, v39
	v_lshrrev_b16 v7, 9, v7
	v_mul_lo_u16 v39, v41, 3
	v_mul_lo_u16 v40, v7, 3
	v_sub_nc_u16 v43, v53, v39
	v_and_b32_e32 v39, 0xff, v55
	v_sub_nc_u16 v44, v54, v40
	v_mul_u32_u24_sdwa v40, v43, v42 dst_sel:DWORD dst_unused:UNUSED_PAD src0_sel:BYTE_0 src1_sel:DWORD
	v_mul_lo_u16 v39, 0xab, v39
	v_mul_u32_u24_sdwa v45, v44, v42 dst_sel:DWORD dst_unused:UNUSED_PAD src0_sel:BYTE_0 src1_sel:DWORD
	v_lshlrev_b32_e32 v46, 3, v40
	v_lshrrev_b16 v39, 9, v39
	v_lshlrev_b32_e32 v45, 3, v45
	s_clause 0x1
	global_load_dwordx4 v[62:65], v46, s[8:9]
	global_load_dwordx4 v[66:69], v45, s[8:9]
	v_mul_lo_u16 v40, v39, 3
	s_clause 0x2
	global_load_dwordx4 v[70:73], v46, s[8:9] offset:16
	global_load_dwordx2 v[51:52], v46, s[8:9] offset:32
	global_load_dwordx4 v[74:77], v45, s[8:9] offset:16
	v_mov_b32_e32 v46, 0x48
	v_sub_nc_u16 v40, v55, v40
	v_mul_u32_u24_sdwa v41, v41, v46 dst_sel:DWORD dst_unused:UNUSED_PAD src0_sel:WORD_0 src1_sel:DWORD
	v_mul_u32_u24_sdwa v7, v7, v46 dst_sel:DWORD dst_unused:UNUSED_PAD src0_sel:WORD_0 src1_sel:DWORD
	v_mul_u32_u24_sdwa v42, v40, v42 dst_sel:DWORD dst_unused:UNUSED_PAD src0_sel:BYTE_0 src1_sel:DWORD
	v_lshlrev_b32_e32 v42, 3, v42
	s_clause 0x3
	global_load_dwordx2 v[86:87], v45, s[8:9] offset:32
	global_load_dwordx4 v[78:81], v42, s[8:9]
	global_load_dwordx4 v[82:85], v42, s[8:9] offset:16
	global_load_dwordx2 v[88:89], v42, s[8:9] offset:32
	v_lshlrev_b32_sdwa v42, v47, v43 dst_sel:DWORD dst_unused:UNUSED_PAD src0_sel:DWORD src1_sel:BYTE_0
	v_lshlrev_b32_sdwa v43, v47, v44 dst_sel:DWORD dst_unused:UNUSED_PAD src0_sel:DWORD src1_sel:BYTE_0
	s_waitcnt vmcnt(0) lgkmcnt(0)
	s_barrier
	buffer_gl0_inv
	v_add3_u32 v42, 0, v41, v42
	v_add3_u32 v41, 0, v7, v43
	v_mul_f32_e32 v44, v5, v63
	v_mul_f32_e32 v63, v9, v63
	v_mul_f32_e32 v45, v33, v65
	v_mul_f32_e32 v65, v37, v65
	v_mul_f32_e32 v7, v32, v67
	v_mul_f32_e32 v67, v36, v67
	v_mul_f32_e32 v43, v24, v69
	v_mul_f32_e32 v69, v30, v69
	v_mul_f32_e32 v90, v25, v71
	v_mul_f32_e32 v71, v31, v71
	v_mul_f32_e32 v49, v19, v73
	v_mul_f32_e32 v73, v29, v73
	v_mul_f32_e32 v91, v15, v52
	v_mul_f32_e32 v52, v27, v52
	v_mul_f32_e32 v92, v18, v75
	v_mul_f32_e32 v75, v28, v75
	v_fmac_f32_e32 v44, v9, v62
	v_fma_f32 v62, v5, v62, -v63
	v_fmac_f32_e32 v45, v37, v64
	v_fma_f32 v63, v33, v64, -v65
	v_mul_f32_e32 v37, v14, v77
	v_mul_f32_e32 v33, v26, v77
	;; [unrolled: 1-line block ×3, first 2 shown]
	v_fmac_f32_e32 v7, v36, v66
	v_fma_f32 v32, v32, v66, -v67
	v_mul_f32_e32 v66, v0, v81
	v_fma_f32 v24, v24, v68, -v69
	v_mul_f32_e32 v67, v12, v83
	v_mul_f32_e32 v69, v2, v89
	;; [unrolled: 1-line block ×6, first 2 shown]
	v_fmac_f32_e32 v43, v30, v68
	v_mul_f32_e32 v64, v16, v83
	v_mul_f32_e32 v9, v17, v85
	v_fmac_f32_e32 v90, v31, v70
	v_mul_f32_e32 v31, v3, v89
	v_fma_f32 v30, v25, v70, -v71
	v_fmac_f32_e32 v49, v29, v72
	v_fma_f32 v25, v19, v72, -v73
	v_fma_f32 v19, v18, v74, -v75
	v_fmac_f32_e32 v37, v26, v76
	v_fma_f32 v18, v14, v76, -v33
	v_fmac_f32_e32 v91, v27, v51
	v_fma_f32 v26, v15, v51, -v52
	v_fma_f32 v11, v11, v86, -v77
	;; [unrolled: 1-line block ×5, first 2 shown]
	v_mul_f32_e32 v68, v13, v85
	v_fmac_f32_e32 v92, v28, v74
	v_fmac_f32_e32 v65, v61, v86
	;; [unrolled: 1-line block ×3, first 2 shown]
	v_fma_f32 v14, v6, v78, -v79
	v_fmac_f32_e32 v5, v0, v80
	v_fmac_f32_e32 v64, v12, v82
	;; [unrolled: 1-line block ×4, first 2 shown]
	v_add_f32_e32 v3, v45, v49
	v_add_f32_e32 v6, v44, v90
	;; [unrolled: 1-line block ×6, first 2 shown]
	v_fma_f32 v0, v17, v84, -v68
	v_add_f32_e32 v2, v8, v45
	v_sub_f32_e32 v12, v63, v25
	v_sub_f32_e32 v51, v90, v91
	v_add_f32_e32 v27, v59, v43
	v_add_f32_e32 v28, v43, v37
	;; [unrolled: 1-line block ×4, first 2 shown]
	v_sub_f32_e32 v68, v92, v65
	v_add_f32_e32 v69, v5, v9
	v_add_f32_e32 v71, v64, v31
	v_sub_f32_e32 v74, v64, v31
	v_fmac_f32_e32 v8, -0.5, v3
	v_add_f32_e32 v3, v6, v91
	v_fmac_f32_e32 v44, -0.5, v10
	v_fma_f32 v17, -0.5, v16, v62
	v_fma_f32 v10, -0.5, v67, v32
	;; [unrolled: 1-line block ×3, first 2 shown]
	v_sub_f32_e32 v13, v30, v26
	v_sub_f32_e32 v52, v24, v18
	;; [unrolled: 1-line block ×5, first 2 shown]
	v_add_f32_e32 v75, v2, v49
	v_add_f32_e32 v76, v27, v37
	v_fmac_f32_e32 v59, -0.5, v28
	v_add_f32_e32 v65, v29, v65
	v_fmac_f32_e32 v7, -0.5, v61
	v_fma_f32 v29, -0.5, v69, v58
	v_fma_f32 v2, -0.5, v71, v36
	v_fmamk_f32 v67, v12, 0xbf5db3d7, v8
	v_fmac_f32_e32 v8, 0x3f5db3d7, v12
	v_fmamk_f32 v28, v51, 0x3f5db3d7, v17
	v_fmac_f32_e32 v17, 0xbf5db3d7, v51
	v_fmamk_f32 v16, v68, 0x3f5db3d7, v10
	v_fmamk_f32 v12, v74, 0x3f5db3d7, v6
	v_fmac_f32_e32 v6, 0xbf5db3d7, v74
	v_fmac_f32_e32 v10, 0xbf5db3d7, v68
	v_fmamk_f32 v27, v13, 0xbf5db3d7, v44
	v_fmac_f32_e32 v44, 0x3f5db3d7, v13
	v_add_f32_e32 v69, v75, v3
	v_sub_f32_e32 v71, v75, v3
	v_fmamk_f32 v51, v52, 0xbf5db3d7, v59
	v_fmac_f32_e32 v59, 0x3f5db3d7, v52
	v_fmamk_f32 v13, v66, 0xbf5db3d7, v7
	v_fmac_f32_e32 v7, 0x3f5db3d7, v66
	v_add_f32_e32 v68, v76, v65
	v_sub_f32_e32 v73, v76, v65
	v_fmamk_f32 v61, v70, 0xbf5db3d7, v29
	v_fmac_f32_e32 v29, 0x3f5db3d7, v70
	v_fmamk_f32 v3, v72, 0xbf5db3d7, v2
	v_fmac_f32_e32 v2, 0x3f5db3d7, v72
	v_mul_f32_e32 v52, 0xbf5db3d7, v28
	v_mul_f32_e32 v70, 0xbf5db3d7, v17
	;; [unrolled: 1-line block ×6, first 2 shown]
	v_fmac_f32_e32 v52, 0.5, v27
	v_fmac_f32_e32 v70, -0.5, v44
	v_fmac_f32_e32 v72, 0.5, v13
	v_fmac_f32_e32 v65, 0.5, v3
	v_fmac_f32_e32 v66, -0.5, v2
	v_fmac_f32_e32 v74, -0.5, v7
	v_add_f32_e32 v75, v67, v52
	v_add_f32_e32 v76, v8, v70
	v_sub_f32_e32 v67, v67, v52
	v_sub_f32_e32 v8, v8, v70
	v_add_f32_e32 v70, v51, v72
	v_sub_f32_e32 v72, v51, v72
	v_sub_f32_e32 v51, v61, v65
	;; [unrolled: 1-line block ×3, first 2 shown]
	v_add_f32_e32 v77, v59, v74
	v_sub_f32_e32 v59, v59, v74
	ds_write2_b32 v42, v69, v75 offset1:3
	ds_write2_b32 v42, v76, v71 offset0:6 offset1:9
	ds_write2_b32 v42, v67, v8 offset0:12 offset1:15
	ds_write2_b32 v41, v68, v70 offset1:3
	ds_write2_b32 v41, v77, v73 offset0:6 offset1:9
	ds_write2_b32 v41, v72, v59 offset0:12 offset1:15
	s_and_saveexec_b32 s6, s1
	s_cbranch_execz .LBB0_25
; %bb.24:
	v_add_f32_e32 v8, v58, v5
	v_add_f32_e32 v36, v36, v64
	v_mul_u32_u24_sdwa v46, v39, v46 dst_sel:DWORD dst_unused:UNUSED_PAD src0_sel:WORD_0 src1_sel:DWORD
	v_lshlrev_b32_sdwa v47, v47, v40 dst_sel:DWORD dst_unused:UNUSED_PAD src0_sel:DWORD src1_sel:BYTE_0
	v_add_f32_e32 v29, v29, v66
	v_add_f32_e32 v8, v8, v9
	;; [unrolled: 1-line block ×4, first 2 shown]
	v_add3_u32 v46, 0, v46, v47
	v_add_f32_e32 v47, v8, v31
	v_sub_f32_e32 v8, v8, v31
	ds_write2_b32 v46, v47, v36 offset1:3
	ds_write2_b32 v46, v29, v8 offset0:6 offset1:9
	ds_write2_b32 v46, v51, v52 offset0:12 offset1:15
.LBB0_25:
	s_or_b32 exec_lo, exec_lo, s6
	v_add_f32_e32 v8, v63, v25
	v_add_f32_e32 v29, v4, v63
	;; [unrolled: 1-line block ×3, first 2 shown]
	v_sub_f32_e32 v31, v45, v49
	v_mul_f32_e32 v28, 0.5, v28
	v_fmac_f32_e32 v4, -0.5, v8
	v_mul_f32_e32 v8, -0.5, v17
	v_add_f32_e32 v17, v29, v25
	v_add_f32_e32 v25, v30, v26
	v_fmac_f32_e32 v28, 0x3f5db3d7, v27
	v_fmamk_f32 v26, v31, 0x3f5db3d7, v4
	v_fmac_f32_e32 v8, 0x3f5db3d7, v44
	v_fmac_f32_e32 v4, 0xbf5db3d7, v31
	v_add_f32_e32 v27, v24, v18
	v_add_f32_e32 v45, v17, v25
	v_sub_f32_e32 v49, v17, v25
	v_add_f32_e32 v17, v38, v24
	v_add_f32_e32 v19, v32, v19
	;; [unrolled: 1-line block ×3, first 2 shown]
	v_fmac_f32_e32 v38, -0.5, v27
	v_sub_f32_e32 v24, v43, v37
	v_mul_f32_e32 v58, 0.5, v16
	v_sub_f32_e32 v62, v4, v8
	v_mul_f32_e32 v65, -0.5, v10
	v_add_f32_e32 v4, v15, v0
	v_add_nc_u32_e32 v25, 0x400, v60
	v_add_f32_e32 v59, v17, v18
	v_lshl_add_u32 v17, v55, 2, 0
	v_lshl_add_u32 v16, v53, 2, 0
	v_add_f32_e32 v64, v19, v11
	v_lshl_add_u32 v19, v56, 2, 0
	v_add_nc_u32_e32 v27, 0x800, v60
	v_lshl_add_u32 v18, v57, 2, 0
	v_add_f32_e32 v46, v26, v28
	v_sub_f32_e32 v61, v26, v28
	v_add_nc_u32_e32 v26, 0xa00, v60
	v_fmamk_f32 v63, v24, 0x3f5db3d7, v38
	v_fmac_f32_e32 v58, 0x3f5db3d7, v13
	v_fmac_f32_e32 v38, 0xbf5db3d7, v24
	v_fmac_f32_e32 v65, 0x3f5db3d7, v7
	v_fma_f32 v36, -0.5, v4, v34
	v_sub_f32_e32 v68, v5, v9
	v_mul_f32_e32 v37, 0.5, v12
	v_mul_f32_e32 v43, -0.5, v6
	s_waitcnt lgkmcnt(0)
	s_barrier
	buffer_gl0_inv
	ds_read_b32 v24, v60
	ds_read_b32 v31, v17
	;; [unrolled: 1-line block ×5, first 2 shown]
	ds_read_b32 v29, v16 offset:1080
	ds_read2_b32 v[12:13], v25 offset0:68 offset1:122
	ds_read2_b32 v[4:5], v25 offset0:176 offset1:230
	;; [unrolled: 1-line block ×5, first 2 shown]
	v_fmamk_f32 v44, v68, 0x3f5db3d7, v36
	v_fmac_f32_e32 v36, 0xbf5db3d7, v68
	v_fmac_f32_e32 v37, 0x3f5db3d7, v3
	;; [unrolled: 1-line block ×3, first 2 shown]
	v_add_f32_e32 v66, v59, v64
	v_add_f32_e32 v67, v63, v58
	v_sub_f32_e32 v2, v59, v64
	v_sub_f32_e32 v3, v63, v58
	;; [unrolled: 1-line block ×4, first 2 shown]
	v_add_f32_e32 v69, v38, v65
	v_sub_f32_e32 v38, v38, v65
	s_waitcnt lgkmcnt(0)
	s_barrier
	buffer_gl0_inv
	ds_write2_b32 v42, v45, v46 offset1:3
	ds_write2_b32 v42, v47, v49 offset0:6 offset1:9
	ds_write2_b32 v42, v61, v62 offset0:12 offset1:15
	ds_write2_b32 v41, v66, v67 offset1:3
	ds_write2_b32 v41, v69, v2 offset0:6 offset1:9
	ds_write2_b32 v41, v3, v38 offset0:12 offset1:15
	s_and_saveexec_b32 s6, s1
	s_cbranch_execz .LBB0_27
; %bb.26:
	v_add_f32_e32 v2, v34, v15
	v_add_f32_e32 v3, v14, v33
	v_mov_b32_e32 v14, 0x48
	v_mov_b32_e32 v15, 2
	v_add_f32_e32 v0, v2, v0
	v_add_f32_e32 v1, v3, v1
	v_mul_u32_u24_sdwa v2, v39, v14 dst_sel:DWORD dst_unused:UNUSED_PAD src0_sel:WORD_0 src1_sel:DWORD
	v_lshlrev_b32_sdwa v3, v15, v40 dst_sel:DWORD dst_unused:UNUSED_PAD src0_sel:DWORD src1_sel:BYTE_0
	v_add_f32_e32 v14, v44, v37
	v_add_f32_e32 v15, v36, v43
	;; [unrolled: 1-line block ×3, first 2 shown]
	v_sub_f32_e32 v0, v0, v1
	v_add3_u32 v2, 0, v2, v3
	ds_write2_b32 v2, v33, v14 offset1:3
	ds_write2_b32 v2, v15, v0 offset0:6 offset1:9
	ds_write2_b32 v2, v58, v59 offset0:12 offset1:15
.LBB0_27:
	s_or_b32 exec_lo, exec_lo, s6
	v_mul_lo_u16 v0, v35, 57
	v_mov_b32_e32 v1, 15
	s_waitcnt lgkmcnt(0)
	s_barrier
	buffer_gl0_inv
	v_lshrrev_b16 v14, 10, v0
	v_add_nc_u32_e32 v40, 0x600, v60
	v_mul_lo_u16 v0, v14, 18
	v_sub_nc_u16 v15, v53, v0
	v_mul_u32_u24_sdwa v0, v15, v1 dst_sel:DWORD dst_unused:UNUSED_PAD src0_sel:BYTE_0 src1_sel:DWORD
	v_lshlrev_b32_e32 v37, 3, v0
	s_clause 0x7
	global_load_dwordx4 v[33:36], v37, s[8:9] offset:120
	global_load_dwordx4 v[42:45], v37, s[8:9] offset:136
	;; [unrolled: 1-line block ×7, first 2 shown]
	global_load_dwordx2 v[46:47], v37, s[8:9] offset:232
	v_mov_b32_e32 v37, 0x120
	ds_read_b32 v49, v48
	ds_read_b32 v85, v17
	v_mul_u32_u24_sdwa v14, v14, v37 dst_sel:DWORD dst_unused:UNUSED_PAD src0_sel:WORD_0 src1_sel:DWORD
	ds_read_b32 v37, v19
	ds_read_b32 v86, v18
	ds_read_b32 v87, v16 offset:1080
	ds_read_b32 v41, v60
	ds_read2_b32 v[77:78], v25 offset0:68 offset1:122
	v_or_b32_sdwa v38, v14, v15 dst_sel:DWORD dst_unused:UNUSED_PAD src0_sel:DWORD src1_sel:BYTE_0
	ds_read2_b32 v[14:15], v25 offset0:176 offset1:230
	ds_read2_b32 v[79:80], v27 offset0:28 offset1:82
	;; [unrolled: 1-line block ×4, first 2 shown]
	s_waitcnt vmcnt(0) lgkmcnt(0)
	s_barrier
	buffer_gl0_inv
	v_lshl_add_u32 v38, v38, 2, 0
	v_add_nc_u32_e32 v39, 0x200, v38
	v_mul_f32_e32 v88, v49, v34
	v_mul_f32_e32 v34, v32, v34
	;; [unrolled: 1-line block ×17, first 2 shown]
	v_fmac_f32_e32 v88, v32, v33
	v_mul_f32_e32 v32, v79, v68
	v_fma_f32 v33, v49, v33, -v34
	v_mul_f32_e32 v34, v10, v68
	v_fmac_f32_e32 v89, v31, v35
	v_mul_f32_e32 v31, v80, v70
	v_fma_f32 v35, v85, v35, -v36
	v_mul_f32_e32 v36, v11, v70
	v_mul_f32_e32 v49, v81, v72
	;; [unrolled: 1-line block ×5, first 2 shown]
	v_fmac_f32_e32 v90, v30, v42
	v_mul_f32_e32 v30, v83, v76
	v_fma_f32 v37, v37, v42, -v43
	v_mul_f32_e32 v42, v6, v76
	v_fmac_f32_e32 v91, v28, v44
	v_mul_f32_e32 v28, v84, v47
	v_mul_f32_e32 v43, v7, v47
	v_fma_f32 v1, v86, v44, -v45
	v_fmac_f32_e32 v92, v29, v61
	v_fma_f32 v29, v87, v61, -v62
	v_fmac_f32_e32 v93, v12, v63
	;; [unrolled: 2-line block ×4, first 2 shown]
	v_fmac_f32_e32 v97, v5, v65
	v_fma_f32 v5, v15, v65, -v66
	v_fmac_f32_e32 v32, v10, v67
	v_fma_f32 v10, v79, v67, -v34
	;; [unrolled: 2-line block ×7, first 2 shown]
	v_sub_f32_e32 v15, v24, v96
	v_sub_f32_e32 v13, v1, v8
	;; [unrolled: 1-line block ×15, first 2 shown]
	v_fma_f32 v42, v89, 2.0, -v32
	v_fma_f32 v43, v35, 2.0, -v10
	;; [unrolled: 1-line block ×9, first 2 shown]
	v_add_f32_e32 v61, v15, v13
	v_add_f32_e32 v66, v32, v6
	v_sub_f32_e32 v68, v10, v8
	v_add_f32_e32 v9, v30, v9
	v_add_f32_e32 v62, v31, v7
	v_fma_f32 v24, v24, 2.0, -v15
	v_fma_f32 v36, v91, 2.0, -v12
	;; [unrolled: 1-line block ×5, first 2 shown]
	v_sub_f32_e32 v34, v5, v34
	v_sub_f32_e32 v28, v11, v28
	v_fma_f32 v63, v15, 2.0, -v61
	v_sub_f32_e32 v8, v42, v35
	v_fma_f32 v67, v32, 2.0, -v66
	v_fma_f32 v69, v10, 2.0, -v68
	v_sub_f32_e32 v10, v45, v46
	v_sub_f32_e32 v15, v33, v29
	v_fma_f32 v29, v30, 2.0, -v9
	v_sub_f32_e32 v35, v37, v0
	v_fma_f32 v31, v31, 2.0, -v62
	v_sub_f32_e32 v36, v24, v36
	v_sub_f32_e32 v44, v43, v44
	v_fma_f32 v30, v5, 2.0, -v34
	v_sub_f32_e32 v32, v47, v49
	v_fma_f32 v49, v11, 2.0, -v28
	v_fmamk_f32 v64, v66, 0x3f3504f3, v61
	v_fmamk_f32 v0, v62, 0x3f3504f3, v9
	;; [unrolled: 1-line block ×3, first 2 shown]
	v_fma_f32 v11, v42, 2.0, -v8
	v_fma_f32 v42, v45, 2.0, -v10
	;; [unrolled: 1-line block ×4, first 2 shown]
	v_fmamk_f32 v37, v67, 0xbf3504f3, v63
	v_fmamk_f32 v5, v31, 0xbf3504f3, v29
	v_fma_f32 v65, v24, 2.0, -v36
	v_fma_f32 v24, v47, 2.0, -v32
	v_add_f32_e32 v47, v36, v44
	v_fmac_f32_e32 v64, 0x3f3504f3, v68
	v_fmamk_f32 v7, v49, 0xbf3504f3, v30
	v_add_f32_e32 v70, v10, v35
	v_fmac_f32_e32 v0, 0x3f3504f3, v28
	v_sub_f32_e32 v71, v15, v32
	v_fmac_f32_e32 v6, 0xbf3504f3, v62
	v_fmac_f32_e32 v37, 0x3f3504f3, v69
	;; [unrolled: 1-line block ×3, first 2 shown]
	v_sub_f32_e32 v28, v65, v11
	v_fma_f32 v32, v36, 2.0, -v47
	v_fma_f32 v35, v61, 2.0, -v64
	v_sub_f32_e32 v11, v42, v24
	v_fmac_f32_e32 v7, 0xbf3504f3, v31
	v_fma_f32 v49, v10, 2.0, -v70
	v_fma_f32 v10, v9, 2.0, -v0
	;; [unrolled: 1-line block ×4, first 2 shown]
	v_fmamk_f32 v31, v70, 0x3f3504f3, v47
	v_fmamk_f32 v24, v0, 0x3f6c835e, v64
	v_fma_f32 v34, v63, 2.0, -v37
	v_fma_f32 v9, v29, 2.0, -v5
	v_sub_f32_e32 v46, v45, v33
	v_fma_f32 v33, v65, 2.0, -v28
	v_fma_f32 v36, v42, 2.0, -v11
	;; [unrolled: 1-line block ×3, first 2 shown]
	v_fmamk_f32 v29, v49, 0xbf3504f3, v32
	v_fmamk_f32 v30, v10, 0xbec3ef15, v35
	;; [unrolled: 1-line block ×3, first 2 shown]
	v_fmac_f32_e32 v31, 0x3f3504f3, v71
	v_fmac_f32_e32 v24, 0x3ec3ef15, v6
	v_fmamk_f32 v63, v9, 0xbf6c835e, v34
	v_sub_f32_e32 v36, v33, v36
	v_fmac_f32_e32 v29, 0x3f3504f3, v72
	v_fmac_f32_e32 v30, 0x3f6c835e, v15
	v_add_f32_e32 v61, v28, v46
	v_fmac_f32_e32 v62, 0x3f6c835e, v7
	v_fma_f32 v47, v47, 2.0, -v31
	v_fma_f32 v64, v64, 2.0, -v24
	v_fmac_f32_e32 v63, 0x3ec3ef15, v42
	ds_write2_b32 v39, v31, v24 offset0:124 offset1:142
	v_fma_f32 v31, v33, 2.0, -v36
	v_fma_f32 v32, v32, 2.0, -v29
	;; [unrolled: 1-line block ×5, first 2 shown]
	ds_write2_b32 v38, v47, v64 offset0:108 offset1:126
	ds_write2_b32 v38, v29, v30 offset0:180 offset1:198
	v_fma_f32 v29, v34, 2.0, -v63
	ds_write2_b32 v38, v61, v62 offset0:216 offset1:234
	ds_write2_b32 v38, v32, v33 offset0:36 offset1:54
	;; [unrolled: 1-line block ×4, first 2 shown]
	ds_write2_b32 v38, v31, v29 offset1:18
	s_waitcnt lgkmcnt(0)
	s_barrier
	buffer_gl0_inv
	ds_read2_b32 v[28:29], v25 offset0:32 offset1:86
	ds_read2_b32 v[30:31], v40 offset0:120 offset1:192
	;; [unrolled: 1-line block ×4, first 2 shown]
	ds_read_b32 v61, v60
	ds_read_b32 v63, v17
	;; [unrolled: 1-line block ×3, first 2 shown]
	ds_read2_b32 v[36:37], v26 offset0:98 offset1:152
	ds_read_b32 v62, v48
	ds_read_b32 v65, v18
	v_mul_f32_e32 v25, 0x3f3504f3, v67
	v_mul_f32_e32 v67, 0x3f3504f3, v69
	;; [unrolled: 1-line block ×8, first 2 shown]
	s_and_saveexec_b32 s1, vcc_lo
	s_cbranch_execz .LBB0_29
; %bb.28:
	ds_read_b32 v51, v60 offset:2232
	ds_read_b32 v24, v16 offset:1080
	;; [unrolled: 1-line block ×3, first 2 shown]
.LBB0_29:
	s_or_b32 exec_lo, exec_lo, s1
	v_mul_f32_e32 v3, v4, v3
	v_fma_f32 v1, v1, 2.0, -v13
	v_fma_f32 v13, v45, 2.0, -v46
	s_waitcnt lgkmcnt(0)
	s_barrier
	v_fma_f32 v2, v14, v2, -v3
	buffer_gl0_inv
	v_sub_f32_e32 v2, v41, v2
	v_fma_f32 v3, v41, 2.0, -v2
	v_sub_f32_e32 v4, v2, v12
	v_fma_f32 v12, v43, 2.0, -v44
	v_add_nc_u32_e32 v44, 0x400, v60
	v_sub_f32_e32 v1, v3, v1
	v_fma_f32 v2, v2, 2.0, -v4
	v_add_f32_e32 v14, v4, v68
	v_fma_f32 v3, v3, 2.0, -v1
	v_sub_f32_e32 v41, v2, v67
	v_sub_f32_e32 v8, v1, v8
	;; [unrolled: 1-line block ×5, first 2 shown]
	v_fma_f32 v1, v1, 2.0, -v8
	v_fma_f32 v4, v4, 2.0, -v14
	v_fmamk_f32 v25, v6, 0x3f6c835e, v14
	v_fma_f32 v3, v3, 2.0, -v12
	v_fma_f32 v2, v2, 2.0, -v41
	v_add_f32_e32 v43, v8, v49
	v_sub_f32_e32 v6, v1, v47
	v_fmamk_f32 v15, v15, 0xbec3ef15, v4
	v_fmamk_f32 v7, v7, 0x3ec3ef15, v41
	v_fmac_f32_e32 v25, 0xbec3ef15, v0
	v_sub_f32_e32 v0, v3, v13
	v_fmamk_f32 v13, v42, 0xbf6c835e, v2
	v_sub_f32_e32 v27, v43, v27
	v_sub_f32_e32 v6, v6, v26
	v_fmac_f32_e32 v15, 0xbf6c835e, v10
	v_sub_f32_e32 v11, v12, v11
	v_fmac_f32_e32 v7, 0xbf6c835e, v5
	v_fmac_f32_e32 v13, 0xbec3ef15, v9
	v_fma_f32 v5, v8, 2.0, -v27
	v_fma_f32 v8, v14, 2.0, -v25
	;; [unrolled: 1-line block ×8, first 2 shown]
	ds_write2_b32 v39, v27, v25 offset0:124 offset1:142
	ds_write2_b32 v38, v5, v8 offset0:108 offset1:126
	;; [unrolled: 1-line block ×7, first 2 shown]
	ds_write2_b32 v38, v3, v2 offset1:18
	v_add_nc_u32_e32 v0, 0x800, v60
	s_waitcnt lgkmcnt(0)
	s_barrier
	buffer_gl0_inv
	ds_read2_b32 v[38:39], v44 offset0:32 offset1:86
	ds_read2_b32 v[40:41], v40 offset0:120 offset1:192
	;; [unrolled: 1-line block ×3, first 2 shown]
	v_add_nc_u32_e32 v0, 0xa00, v60
	ds_read2_b32 v[44:45], v44 offset0:140 offset1:194
	ds_read_b32 v66, v60
	ds_read_b32 v68, v17
	;; [unrolled: 1-line block ×3, first 2 shown]
	ds_read2_b32 v[46:47], v0 offset0:98 offset1:152
	ds_read_b32 v67, v48
	ds_read_b32 v70, v18
	s_and_saveexec_b32 s1, vcc_lo
	s_cbranch_execz .LBB0_31
; %bb.30:
	ds_read_b32 v58, v60 offset:2232
	ds_read_b32 v25, v16 offset:1080
	;; [unrolled: 1-line block ×3, first 2 shown]
.LBB0_31:
	s_or_b32 exec_lo, exec_lo, s1
	s_and_saveexec_b32 s1, s0
	s_cbranch_execz .LBB0_34
; %bb.32:
	v_lshlrev_b32_e32 v26, 1, v57
	v_mov_b32_e32 v27, 0
	v_mul_hi_u32 v49, 0x38e38e39, v53
	v_mul_lo_u32 v48, s4, v23
	v_add_nc_u32_e32 v57, 0xd8, v53
	v_lshlrev_b64 v[20:21], 3, v[20:21]
	v_lshlrev_b64 v[0:1], 3, v[26:27]
	v_lshlrev_b32_e32 v26, 1, v56
	v_add_nc_u32_e32 v56, 0xa2, v53
	v_lshrrev_b32_e32 v49, 6, v49
	v_add_co_u32 v0, s0, s8, v0
	v_add_co_ci_u32_e64 v1, s0, s9, v1, s0
	v_lshlrev_b64 v[2:3], 3, v[26:27]
	v_add_co_u32 v0, s0, 0x800, v0
	v_add_co_ci_u32_e64 v1, s0, 0, v1, s0
	v_lshlrev_b32_e32 v26, 1, v55
	v_add_nc_u32_e32 v55, 0x6c, v53
	v_mul_hi_u32 v72, 0x38e38e39, v56
	global_load_dwordx4 v[16:19], v[0:1], off offset:232
	v_add_co_u32 v0, s0, s8, v2
	v_add_co_ci_u32_e64 v1, s0, s9, v3, s0
	v_lshlrev_b64 v[2:3], 3, v[26:27]
	v_add_co_u32 v0, s0, 0x800, v0
	v_add_co_ci_u32_e64 v1, s0, 0, v1, s0
	v_lshlrev_b32_e32 v26, 1, v54
	v_add_nc_u32_e32 v54, 54, v53
	v_mul_hi_u32 v71, 0x38e38e39, v55
	global_load_dwordx4 v[12:15], v[0:1], off offset:232
	v_add_co_u32 v0, s0, s8, v2
	v_add_co_ci_u32_e64 v1, s0, s9, v3, s0
	v_lshlrev_b64 v[2:3], 3, v[26:27]
	v_add_co_u32 v0, s0, 0x800, v0
	v_add_co_ci_u32_e64 v1, s0, 0, v1, s0
	v_lshlrev_b32_e32 v26, 1, v53
	v_mul_hi_u32 v60, 0x38e38e39, v54
	v_lshrrev_b32_e32 v71, 6, v71
	global_load_dwordx4 v[8:11], v[0:1], off offset:232
	v_add_co_u32 v0, s0, s8, v2
	v_add_co_ci_u32_e64 v1, s0, s9, v3, s0
	v_lshrrev_b32_e32 v72, 6, v72
	v_add_co_u32 v0, s0, 0x800, v0
	v_add_co_ci_u32_e64 v1, s0, 0, v1, s0
	v_lshrrev_b32_e32 v60, 6, v60
	v_mul_u32_u24_e32 v73, 0x120, v72
	global_load_dwordx4 v[4:7], v[0:1], off offset:232
	v_lshlrev_b64 v[0:1], 3, v[26:27]
	v_mul_lo_u32 v26, s5, v22
	v_mad_u64_u32 v[22:23], null, s4, v22, 0
	v_sub_nc_u32_e32 v56, v56, v73
	v_add_co_u32 v0, s0, s8, v0
	v_add_co_ci_u32_e64 v1, s0, s9, v1, s0
	v_add3_u32 v23, v23, v48, v26
	v_add_co_u32 v0, s0, 0x800, v0
	v_add_co_ci_u32_e64 v1, s0, 0, v1, s0
	v_mul_hi_u32 v26, 0x38e38e39, v57
	v_mul_u32_u24_e32 v48, 0x120, v49
	v_mul_u32_u24_e32 v49, 0x120, v71
	global_load_dwordx4 v[0:3], v[0:1], off offset:232
	v_lshlrev_b64 v[22:23], 3, v[22:23]
	v_mad_u32_u24 v97, 0x360, v72, v56
	v_sub_nc_u32_e32 v77, v53, v48
	v_mul_u32_u24_e32 v48, 0x120, v60
	v_lshrrev_b32_e32 v26, 6, v26
	v_sub_nc_u32_e32 v79, v55, v49
	v_add_co_u32 v75, s0, s14, v22
	v_sub_nc_u32_e32 v78, v54, v48
	v_mul_u32_u24_e32 v74, 0x120, v26
	v_add_nc_u32_e32 v94, 0x240, v77
	v_add_co_ci_u32_e64 v76, s0, s15, v23, s0
	v_mad_u32_u24 v95, 0x360, v60, v78
	v_mad_u64_u32 v[22:23], null, s2, v77, 0
	v_add_nc_u32_e32 v92, 0x120, v77
	v_sub_nc_u32_e32 v57, v57, v74
	v_mad_u32_u24 v96, 0x360, v71, v79
	v_mad_u64_u32 v[48:49], null, s2, v94, 0
	v_add_co_u32 v54, s0, v75, v20
	v_add_nc_u32_e32 v98, 0x120, v95
	v_add_co_ci_u32_e64 v55, s0, v76, v21, s0
	v_mad_u64_u32 v[20:21], null, s2, v92, 0
	v_mad_u32_u24 v102, 0x360, v26, v57
	v_mad_u64_u32 v[56:57], null, s2, v95, 0
	v_add_nc_u32_e32 v99, 0x240, v95
	v_mad_u64_u32 v[71:72], null, s2, v96, 0
	v_add_nc_u32_e32 v100, 0x120, v96
	v_add_nc_u32_e32 v101, 0x240, v96
	v_mad_u64_u32 v[77:78], null, s3, v77, v[23:24]
	v_mad_u64_u32 v[73:74], null, s2, v97, 0
	v_add_nc_u32_e32 v103, 0x120, v97
	v_mov_b32_e32 v23, v49
	v_mad_u64_u32 v[78:79], null, s2, v98, 0
	v_mad_u64_u32 v[75:76], null, s2, v102, 0
	;; [unrolled: 1-line block ×4, first 2 shown]
	v_add_nc_u32_e32 v104, 0x240, v97
	v_mad_u64_u32 v[84:85], null, s2, v101, 0
	v_mad_u64_u32 v[92:93], null, s3, v92, v[21:22]
	v_mov_b32_e32 v21, v57
	v_mov_b32_e32 v26, v72
	v_add_nc_u32_e32 v105, 0x120, v102
	v_mad_u64_u32 v[86:87], null, s2, v103, 0
	v_mad_u64_u32 v[93:94], null, s3, v94, v[23:24]
	v_mov_b32_e32 v57, v74
	v_mov_b32_e32 v72, v79
	v_mad_u64_u32 v[88:89], null, s2, v104, 0
	v_mov_b32_e32 v60, v76
	v_mov_b32_e32 v23, v77
	v_mad_u64_u32 v[76:77], null, s3, v95, v[21:22]
	v_mad_u64_u32 v[94:95], null, s3, v96, v[26:27]
	v_mov_b32_e32 v26, v81
	v_mad_u64_u32 v[90:91], null, s2, v105, 0
	v_mov_b32_e32 v74, v83
	v_mov_b32_e32 v77, v85
	;; [unrolled: 1-line block ×4, first 2 shown]
	s_waitcnt lgkmcnt(2)
	v_mad_u64_u32 v[92:93], null, s3, v97, v[57:58]
	v_mad_u64_u32 v[95:96], null, s3, v98, v[72:73]
	v_mov_b32_e32 v57, v87
	v_mad_u64_u32 v[96:97], null, s3, v99, v[26:27]
	v_mad_u64_u32 v[97:98], null, s3, v100, v[74:75]
	;; [unrolled: 1-line block ×3, first 2 shown]
	v_mov_b32_e32 v26, v89
	v_mad_u64_u32 v[99:100], null, s3, v101, v[77:78]
	v_mad_u64_u32 v[100:101], null, s3, v103, v[57:58]
	v_mov_b32_e32 v57, v91
	v_add_nc_u32_e32 v60, 0x240, v102
	v_mad_u64_u32 v[101:102], null, s3, v104, v[26:27]
	v_lshlrev_b64 v[22:23], 3, v[22:23]
	v_mad_u64_u32 v[102:103], null, s3, v105, v[57:58]
	v_mad_u64_u32 v[103:104], null, s2, v60, 0
	v_lshlrev_b64 v[20:21], 3, v[20:21]
	v_mov_b32_e32 v57, v76
	v_mov_b32_e32 v72, v94
	;; [unrolled: 1-line block ×4, first 2 shown]
	v_lshlrev_b64 v[48:49], 3, v[48:49]
	v_mov_b32_e32 v26, v104
	v_add_co_u32 v92, s0, v54, v22
	v_add_co_ci_u32_e64 v93, s0, v55, v23, s0
	v_mad_u64_u32 v[104:105], null, s3, v60, v[26:27]
	v_lshlrev_b64 v[22:23], 3, v[56:57]
	v_lshlrev_b64 v[56:57], 3, v[71:72]
	;; [unrolled: 1-line block ×4, first 2 shown]
	v_add_co_u32 v75, s0, v54, v20
	v_mov_b32_e32 v79, v95
	v_mov_b32_e32 v81, v96
	;; [unrolled: 1-line block ×6, first 2 shown]
	v_add_co_ci_u32_e64 v76, s0, v55, v21, s0
	v_mov_b32_e32 v91, v102
	v_add_co_u32 v94, s0, v54, v48
	v_add_co_ci_u32_e64 v95, s0, v55, v49, s0
	v_lshlrev_b64 v[77:78], 3, v[78:79]
	v_lshlrev_b64 v[79:80], 3, v[80:81]
	;; [unrolled: 1-line block ×6, first 2 shown]
	v_add_co_u32 v89, s0, v54, v22
	v_lshlrev_b64 v[48:49], 3, v[90:91]
	v_add_co_ci_u32_e64 v90, s0, v55, v23, s0
	v_add_co_u32 v56, s0, v54, v56
	v_add_co_ci_u32_e64 v57, s0, v55, v57, s0
	v_add_co_u32 v71, s0, v54, v71
	;; [unrolled: 2-line block ×8, first 2 shown]
	v_add_co_ci_u32_e64 v84, s0, v55, v86, s0
	v_lshlrev_b64 v[20:21], 3, v[103:104]
	v_add_co_u32 v85, s0, v54, v87
	v_add_co_ci_u32_e64 v86, s0, v55, v88, s0
	s_waitcnt vmcnt(4)
	v_mul_f32_e32 v26, v30, v17
	v_mul_f32_e32 v60, v37, v19
	;; [unrolled: 1-line block ×4, first 2 shown]
	v_fma_f32 v26, v40, v16, -v26
	v_fma_f32 v40, v47, v18, -v60
	v_fmac_f32_e32 v17, v30, v16
	v_fmac_f32_e32 v19, v37, v18
	v_sub_f32_e32 v60, v26, v40
	s_waitcnt vmcnt(3)
	v_mul_f32_e32 v16, v35, v13
	v_mul_f32_e32 v18, v36, v15
	;; [unrolled: 1-line block ×4, first 2 shown]
	v_add_f32_e32 v13, v26, v40
	v_sub_f32_e32 v37, v17, v19
	v_add_f32_e32 v47, v17, v19
	s_waitcnt lgkmcnt(0)
	v_add_f32_e32 v26, v70, v26
	v_add_f32_e32 v17, v65, v17
	v_fma_f32 v16, v45, v12, -v16
	v_fma_f32 v18, v46, v14, -v18
	v_fmac_f32_e32 v30, v35, v12
	v_fmac_f32_e32 v15, v36, v14
	s_waitcnt vmcnt(2)
	v_mul_f32_e32 v36, v33, v11
	v_mul_f32_e32 v45, v44, v9
	;; [unrolled: 1-line block ×4, first 2 shown]
	v_fma_f32 v12, -0.5, v13, v70
	v_add_f32_e32 v14, v26, v40
	v_add_f32_e32 v13, v17, v19
	;; [unrolled: 1-line block ×4, first 2 shown]
	v_fma_f32 v36, v43, v10, -v36
	v_fmac_f32_e32 v45, v34, v8
	v_fmac_f32_e32 v46, v33, v10
	v_sub_f32_e32 v17, v30, v15
	s_waitcnt vmcnt(1)
	v_mul_f32_e32 v33, v29, v5
	v_mul_f32_e32 v34, v32, v7
	;; [unrolled: 1-line block ×4, first 2 shown]
	v_sub_f32_e32 v26, v16, v18
	v_add_f32_e32 v16, v69, v16
	v_add_f32_e32 v30, v64, v30
	v_fma_f32 v35, v44, v8, -v35
	v_fmamk_f32 v8, v37, 0xbf5db3d7, v12
	v_fmac_f32_e32 v12, 0x3f5db3d7, v37
	v_fma_f32 v10, -0.5, v9, v69
	v_fma_f32 v9, -0.5, v19, v64
	v_add_f32_e32 v37, v63, v45
	v_fma_f32 v33, v39, v4, -v33
	v_fma_f32 v34, v42, v6, -v34
	v_fmac_f32_e32 v40, v29, v4
	v_fmac_f32_e32 v43, v32, v6
	v_add_f32_e32 v16, v16, v18
	v_add_f32_e32 v15, v30, v15
	s_waitcnt vmcnt(0)
	v_mul_f32_e32 v29, v28, v1
	v_mul_f32_e32 v32, v31, v3
	;; [unrolled: 1-line block ×4, first 2 shown]
	v_add_f32_e32 v5, v35, v36
	v_add_f32_e32 v18, v45, v46
	v_sub_f32_e32 v30, v35, v36
	v_add_f32_e32 v35, v68, v35
	v_fmamk_f32 v4, v17, 0xbf5db3d7, v10
	v_fmamk_f32 v3, v26, 0x3f5db3d7, v9
	v_fmac_f32_e32 v10, 0x3f5db3d7, v17
	v_fmac_f32_e32 v9, 0xbf5db3d7, v26
	v_add_f32_e32 v17, v37, v46
	v_add_f32_e32 v26, v33, v34
	v_fma_f32 v37, v38, v0, -v29
	v_fma_f32 v38, v41, v2, -v32
	v_fmac_f32_e32 v39, v28, v0
	v_fmac_f32_e32 v42, v31, v2
	v_sub_f32_e32 v19, v45, v46
	v_fma_f32 v6, -0.5, v5, v68
	v_fma_f32 v5, -0.5, v18, v63
	v_add_f32_e32 v18, v35, v36
	v_add_f32_e32 v36, v62, v40
	v_sub_f32_e32 v45, v33, v34
	v_add_f32_e32 v33, v67, v33
	v_fma_f32 v29, -0.5, v26, v67
	v_add_f32_e32 v2, v37, v38
	v_add_f32_e32 v26, v39, v42
	;; [unrolled: 1-line block ×3, first 2 shown]
	v_fmamk_f32 v1, v19, 0xbf5db3d7, v6
	v_fmamk_f32 v0, v30, 0x3f5db3d7, v5
	v_fmac_f32_e32 v6, 0x3f5db3d7, v19
	v_fmac_f32_e32 v5, 0xbf5db3d7, v30
	v_add_f32_e32 v30, v36, v43
	v_sub_f32_e32 v19, v39, v42
	v_add_f32_e32 v36, v66, v37
	v_add_f32_e32 v39, v61, v39
	;; [unrolled: 1-line block ×3, first 2 shown]
	v_sub_f32_e32 v34, v37, v38
	v_fma_f32 v33, -0.5, v2, v66
	v_fma_f32 v32, -0.5, v26, v61
	v_sub_f32_e32 v44, v40, v43
	v_fma_f32 v28, -0.5, v35, v62
	v_add_f32_e32 v37, v36, v38
	v_add_f32_e32 v36, v39, v42
	v_fmamk_f32 v39, v19, 0xbf5db3d7, v33
	v_fmamk_f32 v38, v34, 0x3f5db3d7, v32
	v_fmac_f32_e32 v33, 0x3f5db3d7, v19
	v_fmac_f32_e32 v32, 0xbf5db3d7, v34
	v_fmamk_f32 v35, v44, 0xbf5db3d7, v29
	v_fmamk_f32 v34, v45, 0x3f5db3d7, v28
	v_fmac_f32_e32 v29, 0x3f5db3d7, v44
	v_fmac_f32_e32 v28, 0xbf5db3d7, v45
	global_store_dwordx2 v[92:93], v[36:37], off
	global_store_dwordx2 v[75:76], v[32:33], off
	;; [unrolled: 1-line block ×11, first 2 shown]
	v_add_co_u32 v1, s0, v54, v48
	v_add_nc_u32_e32 v0, 0x10e, v53
	v_add_co_ci_u32_e64 v2, s0, v55, v49, s0
	v_fma_f32 v11, -0.5, v47, v65
	v_add_co_u32 v5, s0, v54, v20
	v_add_co_ci_u32_e64 v6, s0, v55, v21, s0
	v_cmp_gt_u32_e64 s0, 0x120, v0
	v_fmamk_f32 v7, v60, 0x3f5db3d7, v11
	v_fmac_f32_e32 v11, 0xbf5db3d7, v60
	global_store_dwordx2 v[85:86], v[3:4], off
	global_store_dwordx2 v[22:23], v[13:14], off
	;; [unrolled: 1-line block ×4, first 2 shown]
	s_and_b32 exec_lo, exec_lo, s0
	s_cbranch_execz .LBB0_34
; %bb.33:
	v_subrev_nc_u32_e32 v1, 18, v53
	v_add_nc_u32_e32 v13, 0x22e, v53
	v_add_nc_u32_e32 v14, 0x34e, v53
	v_mad_u64_u32 v[5:6], null, s2, v0, 0
	v_cndmask_b32_e32 v1, v1, v50, vcc_lo
	v_mad_u64_u32 v[7:8], null, s2, v13, 0
	v_mad_u64_u32 v[9:10], null, s2, v14, 0
	v_lshlrev_b32_e32 v26, 1, v1
	v_mad_u64_u32 v[11:12], null, s3, v0, v[6:7]
	v_lshlrev_b64 v[1:2], 3, v[26:27]
	v_mad_u64_u32 v[12:13], null, s3, v13, v[8:9]
	v_add_co_u32 v1, vcc_lo, s8, v1
	v_add_co_ci_u32_e32 v2, vcc_lo, s9, v2, vcc_lo
	v_mad_u64_u32 v[13:14], null, s3, v14, v[10:11]
	v_add_co_u32 v1, vcc_lo, 0x800, v1
	v_add_co_ci_u32_e32 v2, vcc_lo, 0, v2, vcc_lo
	v_mov_b32_e32 v6, v11
	v_mov_b32_e32 v8, v12
	;; [unrolled: 1-line block ×3, first 2 shown]
	global_load_dwordx4 v[1:4], v[1:2], off offset:232
	v_lshlrev_b64 v[5:6], 3, v[5:6]
	v_lshlrev_b64 v[7:8], 3, v[7:8]
	;; [unrolled: 1-line block ×3, first 2 shown]
	v_add_co_u32 v5, vcc_lo, v54, v5
	v_add_co_ci_u32_e32 v6, vcc_lo, v55, v6, vcc_lo
	v_add_co_u32 v7, vcc_lo, v54, v7
	v_add_co_ci_u32_e32 v8, vcc_lo, v55, v8, vcc_lo
	s_waitcnt vmcnt(0)
	v_mul_f32_e32 v11, v58, v2
	v_mul_f32_e32 v0, v51, v2
	;; [unrolled: 1-line block ×4, first 2 shown]
	v_fmac_f32_e32 v11, v51, v1
	v_fma_f32 v12, v58, v1, -v0
	v_fmac_f32_e32 v2, v52, v3
	v_fma_f32 v3, v59, v3, -v4
	v_add_co_u32 v0, vcc_lo, v54, v9
	v_add_co_ci_u32_e32 v1, vcc_lo, v55, v10, vcc_lo
	v_add_f32_e32 v4, v11, v2
	v_add_f32_e32 v10, v12, v3
	;; [unrolled: 1-line block ×3, first 2 shown]
	v_sub_f32_e32 v13, v12, v3
	v_add_f32_e32 v12, v25, v12
	v_fmac_f32_e32 v24, -0.5, v4
	v_sub_f32_e32 v4, v11, v2
	v_fmac_f32_e32 v25, -0.5, v10
	v_add_f32_e32 v2, v9, v2
	v_add_f32_e32 v3, v12, v3
	v_fmamk_f32 v9, v13, 0xbf5db3d7, v24
	v_fmac_f32_e32 v24, 0x3f5db3d7, v13
	v_fmamk_f32 v10, v4, 0x3f5db3d7, v25
	v_fmac_f32_e32 v25, 0xbf5db3d7, v4
	global_store_dwordx2 v[5:6], v[2:3], off
	global_store_dwordx2 v[7:8], v[9:10], off
	;; [unrolled: 1-line block ×3, first 2 shown]
.LBB0_34:
	s_endpgm
	.section	.rodata,"a",@progbits
	.p2align	6, 0x0
	.amdhsa_kernel fft_rtc_back_len864_factors_3_6_16_3_wgs_54_tpt_54_halfLds_sp_op_CI_CI_sbrr_dirReg
		.amdhsa_group_segment_fixed_size 0
		.amdhsa_private_segment_fixed_size 0
		.amdhsa_kernarg_size 104
		.amdhsa_user_sgpr_count 6
		.amdhsa_user_sgpr_private_segment_buffer 1
		.amdhsa_user_sgpr_dispatch_ptr 0
		.amdhsa_user_sgpr_queue_ptr 0
		.amdhsa_user_sgpr_kernarg_segment_ptr 1
		.amdhsa_user_sgpr_dispatch_id 0
		.amdhsa_user_sgpr_flat_scratch_init 0
		.amdhsa_user_sgpr_private_segment_size 0
		.amdhsa_wavefront_size32 1
		.amdhsa_uses_dynamic_stack 0
		.amdhsa_system_sgpr_private_segment_wavefront_offset 0
		.amdhsa_system_sgpr_workgroup_id_x 1
		.amdhsa_system_sgpr_workgroup_id_y 0
		.amdhsa_system_sgpr_workgroup_id_z 0
		.amdhsa_system_sgpr_workgroup_info 0
		.amdhsa_system_vgpr_workitem_id 0
		.amdhsa_next_free_vgpr 106
		.amdhsa_next_free_sgpr 31
		.amdhsa_reserve_vcc 1
		.amdhsa_reserve_flat_scratch 0
		.amdhsa_float_round_mode_32 0
		.amdhsa_float_round_mode_16_64 0
		.amdhsa_float_denorm_mode_32 3
		.amdhsa_float_denorm_mode_16_64 3
		.amdhsa_dx10_clamp 1
		.amdhsa_ieee_mode 1
		.amdhsa_fp16_overflow 0
		.amdhsa_workgroup_processor_mode 1
		.amdhsa_memory_ordered 1
		.amdhsa_forward_progress 0
		.amdhsa_shared_vgpr_count 0
		.amdhsa_exception_fp_ieee_invalid_op 0
		.amdhsa_exception_fp_denorm_src 0
		.amdhsa_exception_fp_ieee_div_zero 0
		.amdhsa_exception_fp_ieee_overflow 0
		.amdhsa_exception_fp_ieee_underflow 0
		.amdhsa_exception_fp_ieee_inexact 0
		.amdhsa_exception_int_div_zero 0
	.end_amdhsa_kernel
	.text
.Lfunc_end0:
	.size	fft_rtc_back_len864_factors_3_6_16_3_wgs_54_tpt_54_halfLds_sp_op_CI_CI_sbrr_dirReg, .Lfunc_end0-fft_rtc_back_len864_factors_3_6_16_3_wgs_54_tpt_54_halfLds_sp_op_CI_CI_sbrr_dirReg
                                        ; -- End function
	.section	.AMDGPU.csdata,"",@progbits
; Kernel info:
; codeLenInByte = 9896
; NumSgprs: 33
; NumVgprs: 106
; ScratchSize: 0
; MemoryBound: 0
; FloatMode: 240
; IeeeMode: 1
; LDSByteSize: 0 bytes/workgroup (compile time only)
; SGPRBlocks: 4
; VGPRBlocks: 13
; NumSGPRsForWavesPerEU: 33
; NumVGPRsForWavesPerEU: 106
; Occupancy: 9
; WaveLimiterHint : 1
; COMPUTE_PGM_RSRC2:SCRATCH_EN: 0
; COMPUTE_PGM_RSRC2:USER_SGPR: 6
; COMPUTE_PGM_RSRC2:TRAP_HANDLER: 0
; COMPUTE_PGM_RSRC2:TGID_X_EN: 1
; COMPUTE_PGM_RSRC2:TGID_Y_EN: 0
; COMPUTE_PGM_RSRC2:TGID_Z_EN: 0
; COMPUTE_PGM_RSRC2:TIDIG_COMP_CNT: 0
	.text
	.p2alignl 6, 3214868480
	.fill 48, 4, 3214868480
	.type	__hip_cuid_95d5a67efd1fd322,@object ; @__hip_cuid_95d5a67efd1fd322
	.section	.bss,"aw",@nobits
	.globl	__hip_cuid_95d5a67efd1fd322
__hip_cuid_95d5a67efd1fd322:
	.byte	0                               ; 0x0
	.size	__hip_cuid_95d5a67efd1fd322, 1

	.ident	"AMD clang version 19.0.0git (https://github.com/RadeonOpenCompute/llvm-project roc-6.4.0 25133 c7fe45cf4b819c5991fe208aaa96edf142730f1d)"
	.section	".note.GNU-stack","",@progbits
	.addrsig
	.addrsig_sym __hip_cuid_95d5a67efd1fd322
	.amdgpu_metadata
---
amdhsa.kernels:
  - .args:
      - .actual_access:  read_only
        .address_space:  global
        .offset:         0
        .size:           8
        .value_kind:     global_buffer
      - .offset:         8
        .size:           8
        .value_kind:     by_value
      - .actual_access:  read_only
        .address_space:  global
        .offset:         16
        .size:           8
        .value_kind:     global_buffer
      - .actual_access:  read_only
        .address_space:  global
        .offset:         24
        .size:           8
        .value_kind:     global_buffer
      - .actual_access:  read_only
        .address_space:  global
        .offset:         32
        .size:           8
        .value_kind:     global_buffer
      - .offset:         40
        .size:           8
        .value_kind:     by_value
      - .actual_access:  read_only
        .address_space:  global
        .offset:         48
        .size:           8
        .value_kind:     global_buffer
      - .actual_access:  read_only
        .address_space:  global
        .offset:         56
        .size:           8
        .value_kind:     global_buffer
      - .offset:         64
        .size:           4
        .value_kind:     by_value
      - .actual_access:  read_only
        .address_space:  global
        .offset:         72
        .size:           8
        .value_kind:     global_buffer
      - .actual_access:  read_only
        .address_space:  global
        .offset:         80
        .size:           8
        .value_kind:     global_buffer
      - .actual_access:  read_only
        .address_space:  global
        .offset:         88
        .size:           8
        .value_kind:     global_buffer
      - .actual_access:  write_only
        .address_space:  global
        .offset:         96
        .size:           8
        .value_kind:     global_buffer
    .group_segment_fixed_size: 0
    .kernarg_segment_align: 8
    .kernarg_segment_size: 104
    .language:       OpenCL C
    .language_version:
      - 2
      - 0
    .max_flat_workgroup_size: 54
    .name:           fft_rtc_back_len864_factors_3_6_16_3_wgs_54_tpt_54_halfLds_sp_op_CI_CI_sbrr_dirReg
    .private_segment_fixed_size: 0
    .sgpr_count:     33
    .sgpr_spill_count: 0
    .symbol:         fft_rtc_back_len864_factors_3_6_16_3_wgs_54_tpt_54_halfLds_sp_op_CI_CI_sbrr_dirReg.kd
    .uniform_work_group_size: 1
    .uses_dynamic_stack: false
    .vgpr_count:     106
    .vgpr_spill_count: 0
    .wavefront_size: 32
    .workgroup_processor_mode: 1
amdhsa.target:   amdgcn-amd-amdhsa--gfx1030
amdhsa.version:
  - 1
  - 2
...

	.end_amdgpu_metadata
